;; amdgpu-corpus repo=ROCm/rocFFT kind=compiled arch=gfx906 opt=O3
	.text
	.amdgcn_target "amdgcn-amd-amdhsa--gfx906"
	.amdhsa_code_object_version 6
	.protected	bluestein_single_fwd_len140_dim1_half_op_CI_CI ; -- Begin function bluestein_single_fwd_len140_dim1_half_op_CI_CI
	.globl	bluestein_single_fwd_len140_dim1_half_op_CI_CI
	.p2align	8
	.type	bluestein_single_fwd_len140_dim1_half_op_CI_CI,@function
bluestein_single_fwd_len140_dim1_half_op_CI_CI: ; @bluestein_single_fwd_len140_dim1_half_op_CI_CI
; %bb.0:
	s_load_dwordx4 s[0:3], s[4:5], 0x28
	v_mul_u32_u24_e32 v1, 0x925, v0
	v_lshrrev_b32_e32 v1, 16, v1
	v_lshl_add_u32 v10, s6, 1, v1
	v_mov_b32_e32 v11, 0
	s_waitcnt lgkmcnt(0)
	v_cmp_gt_u64_e32 vcc, s[0:1], v[10:11]
	s_and_saveexec_b64 s[0:1], vcc
	s_cbranch_execz .LBB0_23
; %bb.1:
	s_load_dwordx2 s[12:13], s[4:5], 0x0
	s_load_dwordx2 s[6:7], s[4:5], 0x38
	v_mul_lo_u16_e32 v2, 28, v1
	v_sub_u16_e32 v19, v0, v2
	v_and_b32_e32 v0, 1, v1
	v_mov_b32_e32 v1, 0x8c
	v_cmp_eq_u32_e32 vcc, 1, v0
	v_cndmask_b32_e32 v6, 0, v1, vcc
	v_cmp_gt_u16_e32 vcc, 20, v19
	v_lshlrev_b32_e32 v20, 2, v19
	v_lshlrev_b32_e32 v22, 2, v6
	s_and_saveexec_b64 s[8:9], vcc
	s_cbranch_execz .LBB0_3
; %bb.2:
	s_load_dwordx2 s[0:1], s[4:5], 0x18
	s_waitcnt lgkmcnt(0)
	s_load_dwordx4 s[16:19], s[0:1], 0x0
	s_waitcnt lgkmcnt(0)
	v_mad_u64_u32 v[0:1], s[0:1], s18, v10, 0
	v_mad_u64_u32 v[2:3], s[0:1], s16, v19, 0
	;; [unrolled: 1-line block ×3, first 2 shown]
	v_mov_b32_e32 v5, s3
	s_mul_i32 s3, s16, 0x50
	v_mad_u64_u32 v[7:8], s[0:1], s17, v19, v[3:4]
	v_mov_b32_e32 v1, v4
	v_lshlrev_b64 v[0:1], 2, v[0:1]
	v_mov_b32_e32 v3, v7
	v_lshlrev_b64 v[2:3], 2, v[2:3]
	v_add_co_u32_e64 v0, s[0:1], s2, v0
	v_addc_co_u32_e64 v1, s[0:1], v5, v1, s[0:1]
	v_add_co_u32_e64 v0, s[0:1], v0, v2
	v_addc_co_u32_e64 v1, s[0:1], v1, v3, s[0:1]
	s_mul_i32 s0, s17, 0x50
	s_mul_hi_u32 s1, s16, 0x50
	s_add_i32 s2, s1, s0
	v_mov_b32_e32 v3, s2
	v_add_co_u32_e64 v2, s[0:1], s3, v0
	v_addc_co_u32_e64 v3, s[0:1], v1, v3, s[0:1]
	global_load_dword v4, v[0:1], off
	global_load_dword v5, v[2:3], off
	global_load_dword v7, v20, s[12:13]
	global_load_dword v8, v20, s[12:13] offset:80
	v_mov_b32_e32 v1, s2
	v_add_co_u32_e64 v0, s[0:1], s3, v2
	v_addc_co_u32_e64 v1, s[0:1], v3, v1, s[0:1]
	v_mov_b32_e32 v9, s2
	global_load_dword v2, v[0:1], off
	global_load_dword v3, v20, s[12:13] offset:160
	v_add_co_u32_e64 v0, s[0:1], s3, v0
	v_addc_co_u32_e64 v1, s[0:1], v1, v9, s[0:1]
	v_mov_b32_e32 v11, s2
	global_load_dword v9, v[0:1], off
	global_load_dword v12, v20, s[12:13] offset:240
	;; [unrolled: 5-line block ×3, first 2 shown]
	v_add_co_u32_e64 v0, s[0:1], s3, v0
	v_addc_co_u32_e64 v1, s[0:1], v1, v13, s[0:1]
	global_load_dword v13, v[0:1], off
	global_load_dword v15, v20, s[12:13] offset:400
	v_mov_b32_e32 v16, s2
	v_add_co_u32_e64 v0, s[0:1], s3, v0
	v_addc_co_u32_e64 v1, s[0:1], v1, v16, s[0:1]
	global_load_dword v16, v[0:1], off
	global_load_dword v17, v20, s[12:13] offset:480
	v_lshl_add_u32 v0, v19, 2, v22
	v_add_u32_e32 v1, v22, v20
	s_waitcnt vmcnt(13)
	v_lshrrev_b32_e32 v18, 16, v4
	s_waitcnt vmcnt(12)
	v_lshrrev_b32_e32 v23, 16, v5
	s_waitcnt vmcnt(11)
	v_mul_f16_sdwa v21, v7, v4 dst_sel:DWORD dst_unused:UNUSED_PAD src0_sel:WORD_1 src1_sel:DWORD
	v_fma_f16 v21, v7, v18, -v21
	v_mul_f16_sdwa v18, v7, v18 dst_sel:DWORD dst_unused:UNUSED_PAD src0_sel:WORD_1 src1_sel:DWORD
	s_waitcnt vmcnt(10)
	v_mul_f16_sdwa v24, v8, v5 dst_sel:DWORD dst_unused:UNUSED_PAD src0_sel:WORD_1 src1_sel:DWORD
	v_fma_f16 v4, v7, v4, v18
	v_fma_f16 v7, v8, v23, -v24
	v_mul_f16_sdwa v18, v8, v23 dst_sel:DWORD dst_unused:UNUSED_PAD src0_sel:WORD_1 src1_sel:DWORD
	s_waitcnt vmcnt(9)
	v_lshrrev_b32_e32 v23, 16, v2
	s_waitcnt vmcnt(8)
	v_mul_f16_sdwa v24, v3, v2 dst_sel:DWORD dst_unused:UNUSED_PAD src0_sel:WORD_1 src1_sel:DWORD
	v_fma_f16 v5, v8, v5, v18
	v_pack_b32_f16 v4, v4, v21
	v_mul_f16_sdwa v18, v3, v23 dst_sel:DWORD dst_unused:UNUSED_PAD src0_sel:WORD_1 src1_sel:DWORD
	v_fma_f16 v8, v3, v23, -v24
	s_waitcnt vmcnt(7)
	v_lshrrev_b32_e32 v21, 16, v9
	ds_write_b32 v0, v4
	v_fma_f16 v0, v3, v2, v18
	v_pack_b32_f16 v2, v5, v7
	s_waitcnt vmcnt(6)
	v_mul_f16_sdwa v23, v12, v9 dst_sel:DWORD dst_unused:UNUSED_PAD src0_sel:WORD_1 src1_sel:DWORD
	v_mul_f16_sdwa v3, v12, v21 dst_sel:DWORD dst_unused:UNUSED_PAD src0_sel:WORD_1 src1_sel:DWORD
	s_waitcnt vmcnt(5)
	v_lshrrev_b32_e32 v5, 16, v11
	s_waitcnt vmcnt(4)
	v_mul_f16_sdwa v7, v14, v11 dst_sel:DWORD dst_unused:UNUSED_PAD src0_sel:WORD_1 src1_sel:DWORD
	v_pack_b32_f16 v0, v0, v8
	v_mul_f16_sdwa v8, v14, v5 dst_sel:DWORD dst_unused:UNUSED_PAD src0_sel:WORD_1 src1_sel:DWORD
	v_fma_f16 v4, v12, v21, -v23
	v_fma_f16 v3, v12, v9, v3
	v_fma_f16 v5, v14, v5, -v7
	s_waitcnt vmcnt(3)
	v_lshrrev_b32_e32 v7, 16, v13
	ds_write2_b32 v1, v2, v0 offset0:20 offset1:40
	v_fma_f16 v2, v14, v11, v8
	s_waitcnt vmcnt(2)
	v_mul_f16_sdwa v9, v15, v13 dst_sel:DWORD dst_unused:UNUSED_PAD src0_sel:WORD_1 src1_sel:DWORD
	v_pack_b32_f16 v0, v3, v4
	v_mul_f16_sdwa v3, v15, v7 dst_sel:DWORD dst_unused:UNUSED_PAD src0_sel:WORD_1 src1_sel:DWORD
	v_pack_b32_f16 v2, v2, v5
	v_fma_f16 v4, v15, v7, -v9
	v_fma_f16 v3, v15, v13, v3
	ds_write2_b32 v1, v0, v2 offset0:60 offset1:80
	s_waitcnt vmcnt(1)
	v_lshrrev_b32_e32 v2, 16, v16
	v_pack_b32_f16 v0, v3, v4
	s_waitcnt vmcnt(0)
	v_mul_f16_sdwa v3, v17, v2 dst_sel:DWORD dst_unused:UNUSED_PAD src0_sel:WORD_1 src1_sel:DWORD
	v_mul_f16_sdwa v4, v17, v16 dst_sel:DWORD dst_unused:UNUSED_PAD src0_sel:WORD_1 src1_sel:DWORD
	v_fma_f16 v3, v17, v16, v3
	v_fma_f16 v2, v17, v2, -v4
	v_pack_b32_f16 v2, v3, v2
	ds_write2_b32 v1, v0, v2 offset0:100 offset1:120
.LBB0_3:
	s_or_b64 exec, exec, s[8:9]
	s_load_dwordx2 s[0:1], s[4:5], 0x20
	s_load_dwordx2 s[2:3], s[4:5], 0x8
	v_mov_b32_e32 v1, 0
	v_mov_b32_e32 v2, 0
	;; [unrolled: 1-line block ×4, first 2 shown]
	s_waitcnt lgkmcnt(0)
	; wave barrier
	s_waitcnt lgkmcnt(0)
                                        ; implicit-def: $vgpr7
	s_and_saveexec_b64 s[4:5], vcc
	s_cbranch_execz .LBB0_5
; %bb.4:
	v_lshl_add_u32 v0, v6, 2, v20
	ds_read2_b32 v[2:3], v0 offset0:40 offset1:60
	ds_read2_b32 v[4:5], v0 offset0:80 offset1:100
	ds_read_b32 v7, v0 offset:480
	ds_read2_b32 v[0:1], v0 offset1:20
.LBB0_5:
	s_or_b64 exec, exec, s[4:5]
	s_waitcnt lgkmcnt(0)
	v_pk_add_f16 v8, v7, v1
	v_pk_add_f16 v9, v5, v2
	v_pk_add_f16 v7, v1, v7 neg_lo:[0,1] neg_hi:[0,1]
	v_pk_add_f16 v5, v2, v5 neg_lo:[0,1] neg_hi:[0,1]
	v_pk_add_f16 v11, v3, v4
	v_pk_add_f16 v12, v4, v3 neg_lo:[0,1] neg_hi:[0,1]
	v_pk_add_f16 v2, v8, v9
	v_pk_add_f16 v1, v9, v8 neg_lo:[0,1] neg_hi:[0,1]
	v_pk_add_f16 v8, v8, v11 neg_lo:[0,1] neg_hi:[0,1]
	v_pk_add_f16 v3, v5, v12 op_sel:[1,1] op_sel_hi:[0,0]
	v_pk_add_f16 v4, v5, v7 op_sel:[1,1] op_sel_hi:[0,0] neg_lo:[0,1] neg_hi:[0,1]
	v_pk_add_f16 v14, v2, v11
	s_movk_i32 s4, 0x3a52
	s_movk_i32 s5, 0x3b00
	v_pk_add_f16 v13, v7, v12 op_sel:[1,1] op_sel_hi:[0,0] neg_lo:[0,1] neg_hi:[0,1]
	v_pk_add_f16 v2, v7, v3 op_sel:[1,0] op_sel_hi:[0,1]
	v_pk_add_f16 v0, v14, v0
	v_pk_mul_f16 v7, v8, s4 op_sel_hi:[1,0]
	s_movk_i32 s8, 0x39e0
	v_pk_mul_f16 v4, v4, s5 op_sel_hi:[1,0]
	s_mov_b32 s5, 0xbcab
	v_pk_fma_f16 v3, v14, s5, v0 op_sel_hi:[1,0,1]
	v_pk_fma_f16 v7, v1, s8, v7 op_sel_hi:[1,0,1] neg_lo:[1,0,1] neg_hi:[1,0,1]
	v_pk_add_f16 v15, v7, v3
	v_pk_add_f16 v7, v11, v9 neg_lo:[0,1] neg_hi:[0,1]
	s_movk_i32 s10, 0x2b26
	v_pk_add_f16 v9, v12, v5 op_sel:[1,1] op_sel_hi:[0,0] neg_lo:[0,1] neg_hi:[0,1]
	v_pk_mul_f16 v5, v7, s10 op_sel_hi:[1,0]
	s_mov_b32 s10, 0xb846
	s_movk_i32 s5, 0x3574
	v_pk_mul_f16 v7, v9, s10 op_sel_hi:[1,0]
	s_movk_i32 s9, 0x370e
	v_pk_fma_f16 v14, v13, s5, v4 op_sel_hi:[1,0,1] neg_lo:[1,0,1] neg_hi:[1,0,1]
	v_pk_fma_f16 v8, v8, s4, v5 op_sel_hi:[1,0,1]
	v_pk_fma_f16 v9, v13, s5, v7 op_sel_hi:[1,0,1]
	v_pk_add_f16 v13, v8, v3
	v_pk_fma_f16 v16, v2, s9, v9 op_sel_hi:[1,0,1]
	v_pk_fma_f16 v9, v2, s9, v14 op_sel_hi:[1,0,1]
	v_pk_add_f16 v8, v15, v9
	v_pk_add_f16 v9, v15, v9 neg_lo:[0,1] neg_hi:[0,1]
	s_mov_b32 s10, 0xffff
	v_pk_add_f16 v11, v13, v16
	v_pk_add_f16 v14, v13, v16 neg_lo:[0,1] neg_hi:[0,1]
	v_bfi_b32 v12, s10, v9, v8
	v_bfi_b32 v13, s10, v14, v11
	v_mul_lo_u16_e32 v24, 7, v19
	s_waitcnt lgkmcnt(0)
	; wave barrier
	s_and_saveexec_b64 s[4:5], vcc
	s_cbranch_execz .LBB0_7
; %bb.6:
	v_pk_mul_f16 v1, v1, s8 op_sel_hi:[1,0]
	v_pk_mul_f16 v2, v2, s9 op_sel_hi:[1,0]
	v_pk_add_f16 v4, v4, v7 neg_lo:[0,1] neg_hi:[0,1]
	v_pk_add_f16 v1, v1, v5 neg_lo:[0,1] neg_hi:[0,1]
	v_pk_add_f16 v2, v4, v2
	v_pk_add_f16 v1, v1, v3
	v_add_lshl_u32 v15, v6, v24, 2
	v_bfi_b32 v11, s10, v11, v14
	v_pk_add_f16 v3, v1, v2 neg_lo:[0,1] neg_hi:[0,1]
	v_pk_add_f16 v1, v1, v2
	ds_write2_b32 v15, v0, v11 offset1:1
	v_bfi_b32 v0, s10, v8, v9
	v_bfi_b32 v2, s10, v3, v1
	ds_write2_b32 v15, v0, v2 offset0:2 offset1:3
	v_bfi_b32 v0, s10, v1, v3
	ds_write2_b32 v15, v0, v12 offset0:4 offset1:5
	ds_write_b32 v15, v13 offset:24
.LBB0_7:
	s_or_b64 exec, exec, s[4:5]
	v_mov_b32_e32 v0, 37
	v_mul_lo_u16_sdwa v0, v19, v0 dst_sel:DWORD dst_unused:UNUSED_PAD src0_sel:BYTE_0 src1_sel:DWORD
	v_sub_u16_sdwa v1, v19, v0 dst_sel:DWORD dst_unused:UNUSED_PAD src0_sel:DWORD src1_sel:BYTE_1
	v_lshrrev_b16_e32 v1, 1, v1
	v_and_b32_e32 v1, 0x7f, v1
	v_add_u16_sdwa v0, v1, v0 dst_sel:DWORD dst_unused:UNUSED_PAD src0_sel:DWORD src1_sel:BYTE_1
	v_lshrrev_b16_e32 v9, 2, v0
	v_mul_lo_u16_e32 v0, 7, v9
	v_sub_u16_e32 v14, v19, v0
	v_lshlrev_b16_e32 v0, 2, v14
	v_and_b32_e32 v0, 0xfc, v0
	v_lshlrev_b32_e32 v0, 2, v0
	s_load_dwordx4 s[8:11], s[0:1], 0x0
	s_waitcnt lgkmcnt(0)
	; wave barrier
	s_waitcnt lgkmcnt(0)
	global_load_dwordx4 v[0:3], v0, s[2:3]
	v_add_lshl_u32 v23, v6, v19, 2
	ds_read2_b32 v[4:5], v23 offset0:56 offset1:84
	ds_read_b32 v11, v23 offset:448
	ds_read2_b32 v[7:8], v23 offset1:28
	s_movk_i32 s0, 0x3b9c
	s_mov_b32 s4, 0xbb9c
	s_movk_i32 s1, 0x38b4
	s_waitcnt lgkmcnt(2)
	v_lshrrev_b32_e32 v15, 16, v4
	v_lshrrev_b32_e32 v16, 16, v5
	s_waitcnt lgkmcnt(0)
	v_lshrrev_b32_e32 v18, 16, v8
	v_lshrrev_b32_e32 v17, 16, v11
	;; [unrolled: 1-line block ×3, first 2 shown]
	s_mov_b32 s5, 0xb8b4
	s_movk_i32 s14, 0x34f2
	v_mad_legacy_u16 v9, v9, 35, v14
	v_and_b32_e32 v9, 0xff, v9
	s_waitcnt lgkmcnt(0)
	; wave barrier
	s_waitcnt vmcnt(0)
	v_mul_f16_sdwa v25, v15, v1 dst_sel:DWORD dst_unused:UNUSED_PAD src0_sel:DWORD src1_sel:WORD_1
	v_mul_f16_sdwa v26, v4, v1 dst_sel:DWORD dst_unused:UNUSED_PAD src0_sel:DWORD src1_sel:WORD_1
	v_mul_f16_sdwa v27, v16, v2 dst_sel:DWORD dst_unused:UNUSED_PAD src0_sel:DWORD src1_sel:WORD_1
	v_mul_f16_sdwa v28, v5, v2 dst_sel:DWORD dst_unused:UNUSED_PAD src0_sel:DWORD src1_sel:WORD_1
	v_mul_f16_sdwa v31, v8, v0 dst_sel:DWORD dst_unused:UNUSED_PAD src0_sel:DWORD src1_sel:WORD_1
	v_mul_f16_sdwa v32, v18, v0 dst_sel:DWORD dst_unused:UNUSED_PAD src0_sel:DWORD src1_sel:WORD_1
	v_mul_f16_sdwa v29, v17, v3 dst_sel:DWORD dst_unused:UNUSED_PAD src0_sel:DWORD src1_sel:WORD_1
	v_mul_f16_sdwa v30, v11, v3 dst_sel:DWORD dst_unused:UNUSED_PAD src0_sel:DWORD src1_sel:WORD_1
	v_fma_f16 v4, v4, v1, -v25
	v_fma_f16 v5, v5, v2, -v27
	v_fma_f16 v15, v15, v1, v26
	v_fma_f16 v16, v16, v2, v28
	;; [unrolled: 1-line block ×3, first 2 shown]
	v_fma_f16 v8, v8, v0, -v32
	v_fma_f16 v11, v11, v3, -v29
	v_fma_f16 v17, v17, v3, v30
	v_add_f16_e32 v25, v4, v5
	v_add_f16_e32 v27, v7, v8
	;; [unrolled: 1-line block ×5, first 2 shown]
	v_sub_f16_e32 v28, v8, v4
	v_sub_f16_e32 v29, v11, v5
	;; [unrolled: 1-line block ×7, first 2 shown]
	v_add_f16_e32 v38, v18, v17
	v_sub_f16_e32 v40, v15, v16
	v_sub_f16_e32 v8, v8, v11
	;; [unrolled: 1-line block ×3, first 2 shown]
	v_fma_f16 v25, v25, -0.5, v7
	v_add_f16_e32 v4, v27, v4
	v_fma_f16 v27, v37, -0.5, v21
	v_add_f16_e32 v15, v39, v15
	v_sub_f16_e32 v33, v17, v16
	v_fma_f16 v7, v26, -0.5, v7
	v_add_f16_e32 v26, v28, v29
	v_add_f16_e32 v28, v30, v31
	v_fma_f16 v21, v38, -0.5, v21
	v_add_f16_e32 v4, v4, v5
	v_add_f16_e32 v5, v15, v16
	v_fma_f16 v15, v18, s0, v25
	v_fma_f16 v31, v8, s4, v27
	v_sub_f16_e32 v35, v16, v17
	v_add_f16_e32 v29, v32, v33
	v_fma_f16 v16, v18, s4, v25
	v_fma_f16 v25, v40, s4, v7
	;; [unrolled: 1-line block ×7, first 2 shown]
	v_add_f16_e32 v5, v5, v17
	v_fma_f16 v17, v36, s5, v31
	v_add_f16_e32 v30, v34, v35
	v_add_f16_e32 v4, v4, v11
	v_fma_f16 v11, v40, s5, v16
	v_fma_f16 v16, v18, s1, v25
	;; [unrolled: 1-line block ×14, first 2 shown]
	v_add_lshl_u32 v25, v6, v9, 2
	v_pack_b32_f16 v4, v4, v5
	v_pack_b32_f16 v5, v15, v17
	ds_write2_b32 v25, v4, v5 offset1:7
	v_pack_b32_f16 v4, v16, v18
	v_pack_b32_f16 v5, v7, v8
	ds_write2_b32 v25, v4, v5 offset0:14 offset1:21
	v_pack_b32_f16 v4, v11, v26
	ds_write_b32 v25, v4 offset:112
	s_waitcnt lgkmcnt(0)
	; wave barrier
	s_waitcnt lgkmcnt(0)
	ds_read2_b32 v[15:16], v23 offset1:35
	ds_read2_b32 v[17:18], v23 offset0:70 offset1:105
	v_cmp_gt_u16_e64 s[0:1], 7, v19
                                        ; implicit-def: $vgpr27
	s_and_saveexec_b64 s[4:5], s[0:1]
	s_cbranch_execz .LBB0_9
; %bb.8:
	ds_read2_b32 v[11:12], v23 offset0:28 offset1:63
	ds_read2_b32 v[13:14], v23 offset0:98 offset1:133
	s_waitcnt lgkmcnt(1)
	v_lshrrev_b32_e32 v26, 16, v11
	s_waitcnt lgkmcnt(0)
	v_lshrrev_b32_e32 v27, 16, v14
.LBB0_9:
	s_or_b64 exec, exec, s[4:5]
	v_mad_u64_u32 v[4:5], s[4:5], v19, 12, s[2:3]
	v_add_u32_e32 v6, 28, v19
	v_add_u32_e32 v21, -7, v19
	global_load_dwordx3 v[7:9], v[4:5], off offset:112
	v_cndmask_b32_e64 v4, v21, v6, s[0:1]
	v_mul_hi_i32_i24_e32 v5, 12, v4
	v_mul_i32_i24_e32 v4, 12, v4
	v_mov_b32_e32 v6, s3
	v_add_co_u32_e64 v4, s[2:3], s2, v4
	v_addc_co_u32_e64 v5, s[2:3], v6, v5, s[2:3]
	global_load_dwordx3 v[4:6], v[4:5], off offset:112
	s_waitcnt lgkmcnt(1)
	v_lshrrev_b32_e32 v28, 16, v16
	s_waitcnt lgkmcnt(0)
	v_lshrrev_b32_e32 v29, 16, v17
	v_lshrrev_b32_e32 v30, 16, v18
	s_mov_b32 s2, 0x5040100
	v_alignbit_b32 v31, s0, v12, 16
	v_alignbit_b32 v32, s0, v13, 16
	v_perm_b32 v11, v26, v11, s2
	s_mov_b32 s3, 0xffff
	v_lshl_add_u32 v21, v19, 2, v22
	s_waitcnt vmcnt(1)
	v_mul_f16_sdwa v26, v28, v7 dst_sel:DWORD dst_unused:UNUSED_PAD src0_sel:DWORD src1_sel:WORD_1
	v_mul_f16_sdwa v33, v16, v7 dst_sel:DWORD dst_unused:UNUSED_PAD src0_sel:DWORD src1_sel:WORD_1
	;; [unrolled: 1-line block ×6, first 2 shown]
	v_fma_f16 v28, v28, v7, v33
	v_fma_f16 v29, v29, v8, v35
	v_fma_f16 v16, v16, v7, -v26
	s_waitcnt vmcnt(0)
	v_alignbit_b32 v38, v4, v4, 16
	v_pk_mul_f16 v39, v13, v5 op_sel:[0,1] op_sel_hi:[1,0]
	v_pk_mul_f16 v32, v32, v5 op_sel:[0,1] op_sel_hi:[1,0]
	v_fma_f16 v17, v17, v8, -v34
	v_fma_f16 v18, v18, v9, -v36
	v_fma_f16 v26, v30, v9, v37
	v_pk_mul_f16 v30, v31, v38
	v_pk_mul_f16 v31, v12, v38
	v_alignbit_b32 v33, s0, v39, 16
	v_mul_f16_sdwa v40, v27, v6 dst_sel:DWORD dst_unused:UNUSED_PAD src0_sel:DWORD src1_sel:WORD_1
	v_mul_f16_sdwa v41, v14, v6 dst_sel:DWORD dst_unused:UNUSED_PAD src0_sel:DWORD src1_sel:WORD_1
	v_pk_fma_f16 v32, v13, v5, v32 neg_lo:[0,0,1] neg_hi:[0,0,1]
	v_alignbit_b32 v31, s0, v31, 16
	v_pk_fma_f16 v13, v13, v5, v33 op_sel:[0,1,0] op_sel_hi:[1,0,1]
	v_pack_b32_f16 v17, v17, v29
	v_pack_b32_f16 v16, v28, v16
	;; [unrolled: 1-line block ×3, first 2 shown]
	v_fma_f16 v14, v14, v6, -v40
	v_fma_f16 v27, v27, v6, v41
	v_pk_fma_f16 v30, v12, v4, v30 neg_lo:[0,0,1] neg_hi:[0,0,1]
	v_pk_fma_f16 v12, v12, v38, v31
	v_pk_add_f16 v17, v15, v17 neg_lo:[0,1] neg_hi:[0,1]
	v_pk_add_f16 v18, v16, v18 neg_lo:[0,1] neg_hi:[0,1]
	v_pack_b32_f16 v13, v32, v13
	v_pack_b32_f16 v14, v14, v27
	v_pk_fma_f16 v26, v15, 2.0, v17 op_sel_hi:[1,0,1] neg_lo:[0,0,1] neg_hi:[0,0,1]
	v_pk_fma_f16 v15, v16, 2.0, v18 op_sel_hi:[1,0,1] neg_lo:[0,0,1] neg_hi:[0,0,1]
	v_pk_add_f16 v16, v17, v18 neg_lo:[0,1] neg_hi:[0,1]
	v_pk_add_f16 v18, v17, v18
	v_pk_add_f16 v28, v11, v13 neg_lo:[0,1] neg_hi:[0,1]
	v_pack_b32_f16 v12, v30, v12
	v_pk_add_f16 v15, v26, v15 op_sel:[0,1] op_sel_hi:[1,0] neg_lo:[0,1] neg_hi:[0,1]
	v_bfi_b32 v16, s3, v16, v18
	v_pk_fma_f16 v18, v11, 2.0, v28 op_sel_hi:[1,0,1] neg_lo:[0,0,1] neg_hi:[0,0,1]
	v_pk_add_f16 v11, v12, v14 neg_lo:[0,1] neg_hi:[0,1]
	v_pk_fma_f16 v13, v26, 2.0, v15 op_sel_hi:[1,0,1] neg_lo:[0,0,1] neg_hi:[0,0,1]
	v_pk_fma_f16 v14, v17, 2.0, v16 op_sel_hi:[1,0,1] neg_lo:[0,0,1] neg_hi:[0,0,1]
	;; [unrolled: 1-line block ×3, first 2 shown]
	v_pk_add_f16 v12, v28, v11 op_sel:[0,1] op_sel_hi:[1,0] neg_lo:[0,1] neg_hi:[0,1]
	v_pk_add_f16 v26, v28, v11 op_sel:[0,1] op_sel_hi:[1,0]
	v_pk_add_f16 v11, v18, v17 neg_lo:[0,1] neg_hi:[0,1]
	v_bfi_b32 v27, s3, v12, v26
	v_pk_fma_f16 v17, v18, 2.0, v11 op_sel_hi:[1,0,1] neg_lo:[0,0,1] neg_hi:[0,0,1]
	v_pk_fma_f16 v18, v28, 2.0, v27 op_sel_hi:[1,0,1] neg_lo:[0,0,1] neg_hi:[0,0,1]
	ds_write2_b32 v21, v13, v14 offset1:35
	ds_write2_b32 v21, v15, v16 offset0:70 offset1:105
	s_and_saveexec_b64 s[2:3], s[0:1]
	s_cbranch_execz .LBB0_11
; %bb.10:
	ds_write2_b32 v21, v17, v18 offset0:28 offset1:63
	ds_write2_b32 v21, v11, v27 offset0:98 offset1:133
.LBB0_11:
	s_or_b64 exec, exec, s[2:3]
	s_waitcnt lgkmcnt(0)
	; wave barrier
	s_waitcnt lgkmcnt(0)
	s_and_saveexec_b64 s[2:3], vcc
	s_cbranch_execz .LBB0_13
; %bb.12:
	global_load_dword v33, v20, s[12:13] offset:560
	s_add_u32 s4, s12, 0x230
	s_addc_u32 s5, s13, 0
	global_load_dword v34, v20, s[4:5] offset:80
	global_load_dword v35, v20, s[4:5] offset:160
	;; [unrolled: 1-line block ×6, first 2 shown]
	ds_read2_b32 v[27:28], v21 offset1:20
	ds_read2_b32 v[29:30], v21 offset0:40 offset1:60
	ds_read2_b32 v[31:32], v21 offset0:80 offset1:100
	ds_read_b32 v40, v21 offset:480
	s_waitcnt lgkmcnt(3)
	v_lshrrev_b32_e32 v41, 16, v27
	v_lshrrev_b32_e32 v42, 16, v28
	s_waitcnt lgkmcnt(2)
	v_lshrrev_b32_e32 v43, 16, v29
	v_lshrrev_b32_e32 v44, 16, v30
	;; [unrolled: 3-line block ×3, first 2 shown]
	s_waitcnt lgkmcnt(0)
	v_lshrrev_b32_e32 v47, 16, v40
	s_waitcnt vmcnt(3)
	v_mul_f16_sdwa v50, v44, v36 dst_sel:DWORD dst_unused:UNUSED_PAD src0_sel:DWORD src1_sel:WORD_1
	v_mul_f16_sdwa v48, v41, v33 dst_sel:DWORD dst_unused:UNUSED_PAD src0_sel:DWORD src1_sel:WORD_1
	;; [unrolled: 1-line block ×3, first 2 shown]
	v_fma_f16 v27, v27, v33, -v48
	v_fma_f16 v33, v41, v33, v49
	v_pack_b32_f16 v27, v27, v33
	v_mul_f16_sdwa v33, v42, v34 dst_sel:DWORD dst_unused:UNUSED_PAD src0_sel:DWORD src1_sel:WORD_1
	v_mul_f16_sdwa v41, v28, v34 dst_sel:DWORD dst_unused:UNUSED_PAD src0_sel:DWORD src1_sel:WORD_1
	;; [unrolled: 1-line block ×5, first 2 shown]
	s_waitcnt vmcnt(2)
	v_mul_f16_sdwa v52, v45, v37 dst_sel:DWORD dst_unused:UNUSED_PAD src0_sel:DWORD src1_sel:WORD_1
	v_mul_f16_sdwa v53, v31, v37 dst_sel:DWORD dst_unused:UNUSED_PAD src0_sel:DWORD src1_sel:WORD_1
	s_waitcnt vmcnt(1)
	v_mul_f16_sdwa v54, v46, v38 dst_sel:DWORD dst_unused:UNUSED_PAD src0_sel:DWORD src1_sel:WORD_1
	v_mul_f16_sdwa v55, v32, v38 dst_sel:DWORD dst_unused:UNUSED_PAD src0_sel:DWORD src1_sel:WORD_1
	;; [unrolled: 3-line block ×3, first 2 shown]
	v_fma_f16 v28, v28, v34, -v33
	v_fma_f16 v33, v42, v34, v41
	v_fma_f16 v29, v29, v35, -v48
	v_fma_f16 v34, v43, v35, v49
	;; [unrolled: 2-line block ×6, first 2 shown]
	v_pack_b32_f16 v28, v28, v33
	v_pack_b32_f16 v29, v29, v34
	;; [unrolled: 1-line block ×6, first 2 shown]
	ds_write2_b32 v21, v27, v28 offset1:20
	ds_write2_b32 v21, v29, v30 offset0:40 offset1:60
	ds_write2_b32 v21, v31, v32 offset0:80 offset1:100
	ds_write_b32 v21, v33 offset:480
.LBB0_13:
	s_or_b64 exec, exec, s[2:3]
	s_waitcnt lgkmcnt(0)
	; wave barrier
	s_waitcnt lgkmcnt(0)
	s_and_saveexec_b64 s[2:3], vcc
	s_cbranch_execz .LBB0_15
; %bb.14:
	ds_read2_b32 v[13:14], v21 offset1:20
	ds_read2_b32 v[15:16], v21 offset0:40 offset1:60
	ds_read2_b32 v[17:18], v21 offset0:80 offset1:100
	ds_read_b32 v11, v21 offset:480
.LBB0_15:
	s_or_b64 exec, exec, s[2:3]
	s_waitcnt lgkmcnt(0)
	v_pk_add_f16 v28, v11, v14
	v_pk_add_f16 v11, v14, v11 neg_lo:[0,1] neg_hi:[0,1]
	v_pk_add_f16 v14, v18, v15
	v_pk_add_f16 v15, v15, v18 neg_lo:[0,1] neg_hi:[0,1]
	;; [unrolled: 2-line block ×3, first 2 shown]
	v_pk_add_f16 v17, v16, v15 op_sel:[1,1] op_sel_hi:[0,0] neg_lo:[0,1] neg_hi:[0,1]
	s_movk_i32 s2, 0x3846
	v_pk_add_f16 v18, v29, v14 neg_lo:[0,1] neg_hi:[0,1]
	v_pk_mul_f16 v17, v17, s2 op_sel_hi:[1,0]
	v_pk_add_f16 v30, v28, v14
	v_pk_add_f16 v27, v14, v28 neg_lo:[0,1] neg_hi:[0,1]
	v_pk_add_f16 v14, v28, v29 neg_lo:[0,1] neg_hi:[0,1]
	v_pk_add_f16 v28, v16, v15 op_sel:[1,1] op_sel_hi:[0,0]
	s_movk_i32 s2, 0x3a52
	v_pk_add_f16 v16, v11, v16 op_sel:[1,1] op_sel_hi:[0,0] neg_lo:[0,1] neg_hi:[0,1]
	v_pk_add_f16 v15, v15, v11 op_sel:[1,1] op_sel_hi:[0,0] neg_lo:[0,1] neg_hi:[0,1]
	v_pk_add_f16 v31, v29, v30
	v_pk_add_f16 v30, v28, v11 op_sel:[0,1] op_sel_hi:[1,0]
	v_pk_mul_f16 v11, v14, s2 op_sel_hi:[1,0]
	s_mov_b32 s2, 0xbb00
	v_pk_add_f16 v13, v13, v31
	v_pk_mul_f16 v29, v15, s2 op_sel_hi:[1,0]
	s_mov_b32 s2, 0xbcab
	s_movk_i32 s4, 0x2b26
	s_movk_i32 s5, 0x39e0
	v_pk_fma_f16 v28, v31, s2, v13 op_sel_hi:[1,0,1]
	s_mov_b32 s2, 0xb574
	s_mov_b32 s14, 0xb70e
	v_pk_fma_f16 v14, v18, s4, v11 op_sel_hi:[1,0,1]
	v_pk_fma_f16 v11, v27, s5, v11 op_sel_hi:[1,0,1] neg_lo:[1,0,1] neg_hi:[1,0,1]
	v_pk_fma_f16 v15, v16, s2, v17 op_sel_hi:[1,0,1]
	v_pk_fma_f16 v16, v16, s2, v29 op_sel_hi:[1,0,1] neg_lo:[1,0,1] neg_hi:[1,0,1]
	v_pk_add_f16 v11, v11, v28
	v_pk_fma_f16 v32, v30, s14, v15 op_sel_hi:[1,0,1]
	v_pk_fma_f16 v15, v30, s14, v16 op_sel_hi:[1,0,1]
	v_pk_add_f16 v31, v14, v28
	v_pk_add_f16 v33, v15, v11
	v_pk_add_f16 v14, v11, v15 neg_lo:[0,1] neg_hi:[0,1]
	v_lshrrev_b32_e32 v15, 16, v33
	v_sub_f16_e32 v11, v31, v32
	v_add_f16_sdwa v16, v32, v31 dst_sel:DWORD dst_unused:UNUSED_PAD src0_sel:WORD_1 src1_sel:WORD_1
	s_waitcnt lgkmcnt(0)
	; wave barrier
	s_and_saveexec_b64 s[2:3], vcc
	s_cbranch_execz .LBB0_17
; %bb.16:
	v_sub_f16_sdwa v34, v31, v32 dst_sel:DWORD dst_unused:UNUSED_PAD src0_sel:WORD_1 src1_sel:WORD_1
	v_add_f16_e32 v31, v31, v32
	v_pk_mul_f16 v18, v18, s4 op_sel_hi:[1,0]
	v_pk_mul_f16 v27, v27, s5 op_sel_hi:[1,0]
	v_lshl_add_u32 v22, v24, 2, v22
	v_pack_b32_f16 v24, v31, v34
	v_pk_mul_f16 v30, v30, s14 op_sel_hi:[1,0]
	ds_write2_b32 v22, v13, v24 offset1:1
	v_pk_add_f16 v13, v29, v17 neg_lo:[0,1] neg_hi:[0,1]
	v_pk_add_f16 v17, v27, v18 neg_lo:[0,1] neg_hi:[0,1]
	v_pk_add_f16 v13, v30, v13
	v_pk_add_f16 v17, v17, v28
	s_mov_b32 s4, 0xffff
	v_pk_add_f16 v18, v17, v13 neg_lo:[0,1] neg_hi:[0,1]
	v_pk_add_f16 v13, v17, v13
	v_bfi_b32 v33, s4, v33, v14
	v_bfi_b32 v17, s4, v18, v13
	;; [unrolled: 1-line block ×3, first 2 shown]
	s_mov_b32 s4, 0x5040100
	ds_write2_b32 v22, v33, v17 offset0:2 offset1:3
	v_perm_b32 v17, v15, v14, s4
	ds_write2_b32 v22, v13, v17 offset0:4 offset1:5
	v_perm_b32 v13, v16, v11, s4
	ds_write_b32 v22, v13 offset:24
.LBB0_17:
	s_or_b64 exec, exec, s[2:3]
	s_waitcnt lgkmcnt(0)
	; wave barrier
	s_waitcnt lgkmcnt(0)
	ds_read2_b32 v[17:18], v23 offset1:28
	ds_read2_b32 v[27:28], v23 offset0:56 offset1:84
	ds_read_b32 v13, v23 offset:448
	s_mov_b32 s2, 0xbb9c
	s_movk_i32 s5, 0x3b9c
	s_waitcnt lgkmcnt(2)
	v_lshrrev_b32_e32 v24, 16, v18
	v_mul_f16_sdwa v32, v0, v24 dst_sel:DWORD dst_unused:UNUSED_PAD src0_sel:WORD_1 src1_sel:DWORD
	s_waitcnt lgkmcnt(1)
	v_lshrrev_b32_e32 v29, 16, v27
	v_fma_f16 v32, v0, v18, v32
	v_mul_f16_sdwa v18, v0, v18 dst_sel:DWORD dst_unused:UNUSED_PAD src0_sel:WORD_1 src1_sel:DWORD
	v_lshrrev_b32_e32 v30, 16, v28
	v_fma_f16 v0, v0, v24, -v18
	v_mul_f16_sdwa v18, v1, v29 dst_sel:DWORD dst_unused:UNUSED_PAD src0_sel:WORD_1 src1_sel:DWORD
	v_mul_f16_sdwa v24, v1, v27 dst_sel:DWORD dst_unused:UNUSED_PAD src0_sel:WORD_1 src1_sel:DWORD
	s_waitcnt lgkmcnt(0)
	v_lshrrev_b32_e32 v31, 16, v13
	v_fma_f16 v18, v1, v27, v18
	v_fma_f16 v1, v1, v29, -v24
	v_mul_f16_sdwa v24, v2, v30 dst_sel:DWORD dst_unused:UNUSED_PAD src0_sel:WORD_1 src1_sel:DWORD
	v_mul_f16_sdwa v27, v2, v28 dst_sel:DWORD dst_unused:UNUSED_PAD src0_sel:WORD_1 src1_sel:DWORD
	v_fma_f16 v24, v2, v28, v24
	v_fma_f16 v2, v2, v30, -v27
	v_mul_f16_sdwa v27, v3, v31 dst_sel:DWORD dst_unused:UNUSED_PAD src0_sel:WORD_1 src1_sel:DWORD
	v_fma_f16 v27, v3, v13, v27
	v_mul_f16_sdwa v13, v3, v13 dst_sel:DWORD dst_unused:UNUSED_PAD src0_sel:WORD_1 src1_sel:DWORD
	v_fma_f16 v3, v3, v31, -v13
	v_add_f16_e32 v13, v17, v32
	v_add_f16_e32 v13, v13, v18
	v_add_f16_e32 v13, v13, v24
	v_add_f16_e32 v28, v13, v27
	v_add_f16_e32 v13, v18, v24
	v_fma_f16 v13, v13, -0.5, v17
	v_sub_f16_e32 v29, v0, v3
	v_fma_f16 v30, v29, s2, v13
	v_sub_f16_e32 v31, v1, v2
	s_mov_b32 s3, 0xb8b4
	v_sub_f16_e32 v33, v32, v18
	v_sub_f16_e32 v34, v27, v24
	v_fma_f16 v13, v29, s5, v13
	s_movk_i32 s14, 0x38b4
	v_fma_f16 v30, v31, s3, v30
	v_add_f16_e32 v33, v33, v34
	s_movk_i32 s4, 0x34f2
	v_fma_f16 v13, v31, s14, v13
	v_fma_f16 v30, v33, s4, v30
	;; [unrolled: 1-line block ×3, first 2 shown]
	v_add_f16_e32 v33, v32, v27
	v_lshrrev_b32_e32 v22, 16, v17
	v_fma_f16 v17, v33, -0.5, v17
	v_fma_f16 v33, v31, s5, v17
	v_sub_f16_e32 v34, v18, v32
	v_sub_f16_e32 v35, v24, v27
	v_fma_f16 v17, v31, s2, v17
	v_add_f16_e32 v34, v34, v35
	v_fma_f16 v17, v29, s14, v17
	v_fma_f16 v33, v29, s3, v33
	;; [unrolled: 1-line block ×3, first 2 shown]
	v_add_f16_e32 v17, v22, v0
	v_add_f16_e32 v17, v17, v1
	;; [unrolled: 1-line block ×5, first 2 shown]
	v_fma_f16 v17, v17, -0.5, v22
	v_sub_f16_e32 v27, v32, v27
	v_fma_f16 v32, v27, s5, v17
	v_sub_f16_e32 v18, v18, v24
	v_fma_f16 v33, v34, s4, v33
	v_fma_f16 v24, v18, s14, v32
	v_sub_f16_e32 v32, v0, v1
	v_sub_f16_e32 v34, v3, v2
	v_fma_f16 v17, v27, s2, v17
	v_add_f16_e32 v32, v32, v34
	v_fma_f16 v17, v18, s3, v17
	v_fma_f16 v24, v32, s4, v24
	;; [unrolled: 1-line block ×3, first 2 shown]
	v_add_f16_e32 v32, v0, v3
	v_fma_f16 v22, v32, -0.5, v22
	v_fma_f16 v32, v18, s2, v22
	v_sub_f16_e32 v0, v1, v0
	v_sub_f16_e32 v1, v2, v3
	v_fma_f16 v2, v18, s5, v22
	v_fma_f16 v32, v27, s14, v32
	v_add_f16_e32 v0, v0, v1
	v_fma_f16 v2, v27, s3, v2
	v_fma_f16 v1, v0, s4, v32
	;; [unrolled: 1-line block ×3, first 2 shown]
	v_pack_b32_f16 v1, v33, v1
	v_pack_b32_f16 v0, v29, v0
	s_waitcnt lgkmcnt(0)
	; wave barrier
	v_pack_b32_f16 v2, v28, v31
	v_pack_b32_f16 v3, v30, v24
	ds_write2_b32 v25, v1, v0 offset0:14 offset1:21
	v_pack_b32_f16 v0, v13, v17
	ds_write2_b32 v25, v2, v3 offset1:7
	ds_write_b32 v25, v0 offset:112
	s_waitcnt lgkmcnt(0)
	; wave barrier
	s_waitcnt lgkmcnt(0)
	ds_read2_b32 v[0:1], v23 offset1:35
	ds_read2_b32 v[2:3], v23 offset0:70 offset1:105
	v_lshrrev_b32_e32 v18, 16, v26
	s_and_saveexec_b64 s[2:3], s[0:1]
	s_cbranch_execz .LBB0_19
; %bb.18:
	ds_read2_b32 v[13:14], v23 offset0:28 offset1:63
	ds_read2_b32 v[11:12], v23 offset0:98 offset1:133
	s_waitcnt lgkmcnt(1)
	v_lshrrev_b32_e32 v17, 16, v13
	v_lshrrev_b32_e32 v15, 16, v14
	s_waitcnt lgkmcnt(0)
	v_lshrrev_b32_e32 v16, 16, v11
	v_lshrrev_b32_e32 v18, 16, v12
.LBB0_19:
	s_or_b64 exec, exec, s[2:3]
	s_waitcnt lgkmcnt(1)
	v_lshrrev_b32_e32 v23, 16, v1
	v_mul_f16_sdwa v26, v7, v23 dst_sel:DWORD dst_unused:UNUSED_PAD src0_sel:WORD_1 src1_sel:DWORD
	s_waitcnt lgkmcnt(0)
	v_lshrrev_b32_e32 v24, 16, v2
	v_fma_f16 v26, v7, v1, v26
	v_mul_f16_sdwa v1, v7, v1 dst_sel:DWORD dst_unused:UNUSED_PAD src0_sel:WORD_1 src1_sel:DWORD
	v_fma_f16 v1, v7, v23, -v1
	v_mul_f16_sdwa v7, v8, v24 dst_sel:DWORD dst_unused:UNUSED_PAD src0_sel:WORD_1 src1_sel:DWORD
	v_lshrrev_b32_e32 v25, 16, v3
	v_fma_f16 v7, v8, v2, v7
	v_mul_f16_sdwa v2, v8, v2 dst_sel:DWORD dst_unused:UNUSED_PAD src0_sel:WORD_1 src1_sel:DWORD
	v_fma_f16 v2, v8, v24, -v2
	v_mul_f16_sdwa v8, v9, v25 dst_sel:DWORD dst_unused:UNUSED_PAD src0_sel:WORD_1 src1_sel:DWORD
	v_fma_f16 v8, v9, v3, v8
	v_mul_f16_sdwa v3, v9, v3 dst_sel:DWORD dst_unused:UNUSED_PAD src0_sel:WORD_1 src1_sel:DWORD
	v_lshrrev_b32_e32 v22, 16, v0
	v_fma_f16 v3, v9, v25, -v3
	v_sub_f16_e32 v7, v0, v7
	v_sub_f16_e32 v2, v22, v2
	;; [unrolled: 1-line block ×4, first 2 shown]
	v_fma_f16 v0, v0, 2.0, -v7
	v_fma_f16 v9, v22, 2.0, -v2
	;; [unrolled: 1-line block ×4, first 2 shown]
	v_sub_f16_e32 v22, v0, v22
	v_sub_f16_e32 v1, v9, v1
	v_add_f16_e32 v3, v7, v3
	v_sub_f16_e32 v8, v2, v8
	v_fma_f16 v0, v0, 2.0, -v22
	v_fma_f16 v9, v9, 2.0, -v1
	;; [unrolled: 1-line block ×4, first 2 shown]
	v_pack_b32_f16 v0, v0, v9
	v_pack_b32_f16 v2, v7, v2
	ds_write2_b32 v21, v0, v2 offset1:35
	v_pack_b32_f16 v0, v22, v1
	v_pack_b32_f16 v1, v3, v8
	ds_write2_b32 v21, v0, v1 offset0:70 offset1:105
	s_and_saveexec_b64 s[2:3], s[0:1]
	s_cbranch_execz .LBB0_21
; %bb.20:
	v_mul_f16_sdwa v0, v5, v16 dst_sel:DWORD dst_unused:UNUSED_PAD src0_sel:WORD_1 src1_sel:DWORD
	v_mul_f16_sdwa v8, v5, v11 dst_sel:DWORD dst_unused:UNUSED_PAD src0_sel:WORD_1 src1_sel:DWORD
	v_fma_f16 v0, v5, v11, v0
	v_mul_f16_sdwa v1, v4, v14 dst_sel:DWORD dst_unused:UNUSED_PAD src0_sel:WORD_1 src1_sel:DWORD
	v_fma_f16 v5, v5, v16, -v8
	v_mul_f16_sdwa v8, v4, v15 dst_sel:DWORD dst_unused:UNUSED_PAD src0_sel:WORD_1 src1_sel:DWORD
	v_fma_f16 v1, v4, v15, -v1
	v_mul_f16_sdwa v2, v6, v12 dst_sel:DWORD dst_unused:UNUSED_PAD src0_sel:WORD_1 src1_sel:DWORD
	v_fma_f16 v4, v4, v14, v8
	v_mul_f16_sdwa v8, v6, v18 dst_sel:DWORD dst_unused:UNUSED_PAD src0_sel:WORD_1 src1_sel:DWORD
	v_fma_f16 v2, v6, v18, -v2
	v_fma_f16 v6, v6, v12, v8
	v_sub_f16_e32 v0, v13, v0
	v_sub_f16_e32 v2, v1, v2
	;; [unrolled: 1-line block ×4, first 2 shown]
	v_add_f16_e32 v3, v0, v2
	v_sub_f16_e32 v8, v5, v6
	v_fma_f16 v7, v0, 2.0, -v3
	v_fma_f16 v9, v5, 2.0, -v8
	;; [unrolled: 1-line block ×6, first 2 shown]
	v_sub_f16_e32 v4, v0, v4
	v_sub_f16_e32 v1, v5, v1
	v_fma_f16 v0, v0, 2.0, -v4
	v_fma_f16 v2, v5, 2.0, -v1
	v_pack_b32_f16 v0, v0, v2
	v_pack_b32_f16 v2, v7, v9
	ds_write2_b32 v21, v0, v2 offset0:28 offset1:63
	v_pack_b32_f16 v0, v4, v1
	v_pack_b32_f16 v1, v3, v8
	ds_write2_b32 v21, v0, v1 offset0:98 offset1:133
.LBB0_21:
	s_or_b64 exec, exec, s[2:3]
	s_waitcnt lgkmcnt(0)
	; wave barrier
	s_waitcnt lgkmcnt(0)
	s_and_b64 exec, exec, vcc
	s_cbranch_execz .LBB0_23
; %bb.22:
	global_load_dword v6, v20, s[12:13]
	global_load_dword v5, v20, s[12:13] offset:80
	ds_read_b32 v17, v21
	v_mad_u64_u32 v[13:14], s[0:1], s10, v10, 0
	v_mad_u64_u32 v[2:3], s[0:1], s8, v19, 0
	v_mov_b32_e32 v4, 0x7c00
	v_mad_u64_u32 v[14:15], s[0:1], s11, v10, v[14:15]
	s_waitcnt lgkmcnt(0)
	v_lshrrev_b32_e32 v10, 16, v17
	v_mad_u64_u32 v[15:16], s[0:1], s9, v19, v[3:4]
	ds_read2_b32 v[0:1], v21 offset0:20 offset1:40
	s_mov_b32 s14, 0x1d41d41d
	s_mov_b32 s15, 0x3f7d41d4
	global_load_dword v7, v20, s[12:13] offset:160
	global_load_dword v9, v20, s[12:13] offset:240
	;; [unrolled: 1-line block ×5, first 2 shown]
	s_movk_i32 s18, 0x1ff
	s_movk_i32 s17, 0xffe
	s_movk_i32 s16, 0x40f
	s_mov_b32 s10, 0x8000
	v_lshlrev_b64 v[13:14], 2, v[13:14]
	s_waitcnt vmcnt(6)
	v_mul_f16_sdwa v3, v10, v6 dst_sel:DWORD dst_unused:UNUSED_PAD src0_sel:DWORD src1_sel:WORD_1
	v_fma_f16 v3, v17, v6, v3
	v_mul_f16_sdwa v16, v17, v6 dst_sel:DWORD dst_unused:UNUSED_PAD src0_sel:DWORD src1_sel:WORD_1
	v_cvt_f32_f16_e32 v3, v3
	v_fma_f16 v6, v6, v10, -v16
	v_cvt_f32_f16_e32 v6, v6
	s_waitcnt lgkmcnt(0)
	v_lshrrev_b32_e32 v10, 16, v0
	v_cvt_f64_f32_e32 v[16:17], v3
	s_waitcnt vmcnt(5)
	v_mul_f16_sdwa v3, v10, v5 dst_sel:DWORD dst_unused:UNUSED_PAD src0_sel:DWORD src1_sel:WORD_1
	v_cvt_f64_f32_e32 v[18:19], v6
	v_fma_f16 v3, v0, v5, v3
	v_mul_f64 v[16:17], v[16:17], s[14:15]
	v_cvt_f32_f16_e32 v6, v3
	v_mul_f64 v[18:19], v[18:19], s[14:15]
	v_mov_b32_e32 v3, v15
	v_lshlrev_b64 v[2:3], 2, v[2:3]
	v_cvt_f64_f32_e32 v[22:23], v6
	v_mul_f16_sdwa v0, v0, v5 dst_sel:DWORD dst_unused:UNUSED_PAD src0_sel:DWORD src1_sel:WORD_1
	v_fma_f16 v0, v5, v10, -v0
	v_and_or_b32 v6, v17, s18, v16
	v_cmp_ne_u32_e32 vcc, 0, v6
	v_and_or_b32 v18, v19, s18, v18
	v_lshrrev_b32_e32 v15, 8, v17
	v_bfe_u32 v16, v17, 20, 11
	v_cndmask_b32_e64 v6, 0, 1, vcc
	v_cmp_ne_u32_e32 vcc, 0, v18
	v_lshrrev_b32_e32 v20, 8, v19
	v_bfe_u32 v24, v19, 20, 11
	v_sub_u32_e32 v25, 0x3f1, v16
	v_cndmask_b32_e64 v18, 0, 1, vcc
	v_and_or_b32 v6, v15, s17, v6
	v_sub_u32_e32 v26, 0x3f1, v24
	v_med3_i32 v15, v25, 0, 13
	v_and_or_b32 v18, v20, s17, v18
	v_or_b32_e32 v25, 0x1000, v6
	v_add_u32_e32 v16, 0xfffffc10, v16
	v_med3_i32 v20, v26, 0, 13
	v_cmp_ne_u32_e32 vcc, 0, v6
	v_or_b32_e32 v27, 0x1000, v18
	v_lshrrev_b32_e32 v29, v15, v25
	v_add_u32_e32 v24, 0xfffffc10, v24
	v_lshl_or_b32 v26, v16, 12, v6
	v_cndmask_b32_e64 v6, 0, 1, vcc
	v_cmp_ne_u32_e32 vcc, 0, v18
	v_lshrrev_b32_e32 v30, v20, v27
	v_lshlrev_b32_e32 v15, v15, v29
	v_lshl_or_b32 v28, v24, 12, v18
	v_cndmask_b32_e64 v18, 0, 1, vcc
	v_lshlrev_b32_e32 v20, v20, v30
	v_cmp_ne_u32_e32 vcc, v15, v25
	v_cndmask_b32_e64 v15, 0, 1, vcc
	v_cmp_ne_u32_e32 vcc, v20, v27
	v_cndmask_b32_e64 v20, 0, 1, vcc
	v_or_b32_e32 v15, v29, v15
	v_cmp_gt_i32_e32 vcc, 1, v16
	v_cndmask_b32_e32 v15, v26, v15, vcc
	v_or_b32_e32 v20, v30, v20
	v_cmp_gt_i32_e32 vcc, 1, v24
	v_and_b32_e32 v25, 7, v15
	v_cndmask_b32_e32 v20, v28, v20, vcc
	v_cmp_lt_i32_e32 vcc, 5, v25
	v_cmp_eq_u32_e64 s[0:1], 3, v25
	v_lshrrev_b32_e32 v15, 2, v15
	v_and_b32_e32 v26, 7, v20
	s_or_b64 vcc, s[0:1], vcc
	v_cmp_lt_i32_e64 s[2:3], 5, v26
	v_cmp_eq_u32_e64 s[4:5], 3, v26
	v_addc_co_u32_e32 v15, vcc, 0, v15, vcc
	v_lshrrev_b32_e32 v20, 2, v20
	s_or_b64 vcc, s[4:5], s[2:3]
	v_addc_co_u32_e32 v20, vcc, 0, v20, vcc
	v_cmp_gt_i32_e32 vcc, 31, v16
	v_cndmask_b32_e32 v15, v4, v15, vcc
	v_cmp_gt_i32_e32 vcc, 31, v24
	v_lshl_or_b32 v6, v6, 9, v4
	v_cndmask_b32_e32 v20, v4, v20, vcc
	v_cmp_eq_u32_e32 vcc, s16, v16
	v_lshrrev_b32_e32 v17, 16, v17
	v_lshl_or_b32 v18, v18, 9, v4
	v_cndmask_b32_e32 v6, v15, v6, vcc
	v_cmp_eq_u32_e32 vcc, s16, v24
	v_lshrrev_b32_e32 v19, 16, v19
	v_cndmask_b32_e32 v15, v20, v18, vcc
	v_and_or_b32 v6, v17, s10, v6
	v_and_or_b32 v15, v19, s10, v15
	v_and_b32_e32 v6, 0xffff, v6
	v_lshl_or_b32 v6, v15, 16, v6
	v_mul_f64 v[15:16], v[22:23], s[14:15]
	v_mov_b32_e32 v17, s7
	v_add_co_u32_e32 v13, vcc, s6, v13
	v_addc_co_u32_e32 v14, vcc, v17, v14, vcc
	v_add_co_u32_e32 v2, vcc, v13, v2
	v_addc_co_u32_e32 v3, vcc, v14, v3, vcc
	global_store_dword v[2:3], v6, off
	v_and_or_b32 v6, v16, s18, v15
	v_cmp_ne_u32_e32 vcc, 0, v6
	v_cndmask_b32_e64 v6, 0, 1, vcc
	v_lshrrev_b32_e32 v13, 8, v16
	v_bfe_u32 v14, v16, 20, 11
	v_and_or_b32 v13, v13, s17, v6
	v_sub_u32_e32 v15, 0x3f1, v14
	v_or_b32_e32 v6, 0x1000, v13
	v_med3_i32 v15, v15, 0, 13
	v_lshrrev_b32_e32 v17, v15, v6
	v_lshlrev_b32_e32 v15, v15, v17
	v_cmp_ne_u32_e32 vcc, v15, v6
	v_cvt_f32_f16_e32 v0, v0
	v_cndmask_b32_e64 v6, 0, 1, vcc
	v_add_u32_e32 v14, 0xfffffc10, v14
	v_or_b32_e32 v6, v17, v6
	v_lshl_or_b32 v15, v14, 12, v13
	v_cmp_gt_i32_e32 vcc, 1, v14
	v_cndmask_b32_e32 v6, v15, v6, vcc
	v_and_b32_e32 v15, 7, v6
	v_lshrrev_b32_e32 v10, 2, v6
	v_cvt_f64_f32_e32 v[5:6], v0
	v_cmp_lt_i32_e32 vcc, 5, v15
	v_cmp_eq_u32_e64 s[0:1], 3, v15
	s_or_b64 vcc, s[0:1], vcc
	v_mul_f64 v[5:6], v[5:6], s[14:15]
	v_addc_co_u32_e32 v0, vcc, 0, v10, vcc
	v_cmp_gt_i32_e32 vcc, 31, v14
	v_cndmask_b32_e32 v0, v4, v0, vcc
	v_cmp_ne_u32_e32 vcc, 0, v13
	v_cndmask_b32_e64 v10, 0, 1, vcc
	v_lshl_or_b32 v10, v10, 9, v4
	v_cmp_eq_u32_e32 vcc, s16, v14
	v_and_or_b32 v5, v6, s18, v5
	v_cndmask_b32_e32 v0, v0, v10, vcc
	v_lshrrev_b32_e32 v10, 16, v16
	v_cmp_ne_u32_e32 vcc, 0, v5
	v_and_or_b32 v0, v10, s10, v0
	v_cndmask_b32_e64 v5, 0, 1, vcc
	v_lshrrev_b32_e32 v10, 8, v6
	v_bfe_u32 v13, v6, 20, 11
	v_and_or_b32 v5, v10, s17, v5
	v_sub_u32_e32 v14, 0x3f1, v13
	v_or_b32_e32 v10, 0x1000, v5
	v_med3_i32 v14, v14, 0, 13
	v_lshrrev_b32_e32 v15, v14, v10
	v_lshlrev_b32_e32 v14, v14, v15
	v_cmp_ne_u32_e32 vcc, v14, v10
	v_cndmask_b32_e64 v10, 0, 1, vcc
	v_add_u32_e32 v13, 0xfffffc10, v13
	v_or_b32_e32 v10, v15, v10
	v_lshl_or_b32 v14, v13, 12, v5
	v_cmp_gt_i32_e32 vcc, 1, v13
	v_cndmask_b32_e32 v10, v14, v10, vcc
	v_and_b32_e32 v14, 7, v10
	v_cmp_lt_i32_e32 vcc, 5, v14
	v_cmp_eq_u32_e64 s[0:1], 3, v14
	v_lshrrev_b32_e32 v10, 2, v10
	s_or_b64 vcc, s[0:1], vcc
	v_addc_co_u32_e32 v10, vcc, 0, v10, vcc
	v_cmp_gt_i32_e32 vcc, 31, v13
	v_cndmask_b32_e32 v10, v4, v10, vcc
	v_cmp_ne_u32_e32 vcc, 0, v5
	v_cndmask_b32_e64 v5, 0, 1, vcc
	v_lshl_or_b32 v5, v5, 9, v4
	v_cmp_eq_u32_e32 vcc, s16, v13
	v_cndmask_b32_e32 v5, v10, v5, vcc
	v_lshrrev_b32_e32 v10, 16, v1
	s_waitcnt vmcnt(5)
	v_mul_f16_sdwa v13, v10, v7 dst_sel:DWORD dst_unused:UNUSED_PAD src0_sel:DWORD src1_sel:WORD_1
	v_fma_f16 v13, v1, v7, v13
	v_cvt_f32_f16_e32 v13, v13
	v_lshrrev_b32_e32 v6, 16, v6
	v_and_or_b32 v5, v6, s10, v5
	v_and_b32_e32 v0, 0xffff, v0
	v_lshl_or_b32 v0, v5, 16, v0
	v_cvt_f64_f32_e32 v[5:6], v13
	s_mul_i32 s0, s9, 0x50
	s_mul_hi_u32 s2, s8, 0x50
	s_add_i32 s2, s2, s0
	v_mul_f64 v[5:6], v[5:6], s[14:15]
	s_mul_i32 s3, s8, 0x50
	v_mov_b32_e32 v13, s2
	v_add_co_u32_e32 v2, vcc, s3, v2
	v_addc_co_u32_e32 v3, vcc, v3, v13, vcc
	global_store_dword v[2:3], v0, off
	v_and_or_b32 v0, v6, s18, v5
	v_cmp_ne_u32_e32 vcc, 0, v0
	v_cndmask_b32_e64 v0, 0, 1, vcc
	v_lshrrev_b32_e32 v5, 8, v6
	v_bfe_u32 v13, v6, 20, 11
	v_and_or_b32 v5, v5, s17, v0
	v_sub_u32_e32 v14, 0x3f1, v13
	v_or_b32_e32 v0, 0x1000, v5
	v_med3_i32 v14, v14, 0, 13
	v_lshrrev_b32_e32 v15, v14, v0
	v_mul_f16_sdwa v1, v1, v7 dst_sel:DWORD dst_unused:UNUSED_PAD src0_sel:DWORD src1_sel:WORD_1
	v_lshlrev_b32_e32 v14, v14, v15
	v_fma_f16 v1, v7, v10, -v1
	v_cmp_ne_u32_e32 vcc, v14, v0
	v_cvt_f32_f16_e32 v1, v1
	v_cndmask_b32_e64 v0, 0, 1, vcc
	v_add_u32_e32 v13, 0xfffffc10, v13
	v_or_b32_e32 v0, v15, v0
	v_lshl_or_b32 v14, v13, 12, v5
	v_cmp_gt_i32_e32 vcc, 1, v13
	v_cndmask_b32_e32 v0, v14, v0, vcc
	v_and_b32_e32 v14, 7, v0
	v_lshrrev_b32_e32 v7, 2, v0
	v_cvt_f64_f32_e32 v[0:1], v1
	v_cmp_lt_i32_e32 vcc, 5, v14
	v_cmp_eq_u32_e64 s[0:1], 3, v14
	s_or_b64 vcc, s[0:1], vcc
	v_mul_f64 v[0:1], v[0:1], s[14:15]
	v_addc_co_u32_e32 v7, vcc, 0, v7, vcc
	v_cmp_gt_i32_e32 vcc, 31, v13
	v_cndmask_b32_e32 v7, v4, v7, vcc
	v_cmp_ne_u32_e32 vcc, 0, v5
	v_cndmask_b32_e64 v5, 0, 1, vcc
	v_lshl_or_b32 v5, v5, 9, v4
	v_cmp_eq_u32_e32 vcc, s16, v13
	v_and_or_b32 v0, v1, s18, v0
	v_cndmask_b32_e32 v5, v7, v5, vcc
	v_lshrrev_b32_e32 v6, 16, v6
	v_cmp_ne_u32_e32 vcc, 0, v0
	v_and_or_b32 v7, v6, s10, v5
	v_cndmask_b32_e64 v0, 0, 1, vcc
	v_lshrrev_b32_e32 v5, 8, v1
	v_bfe_u32 v6, v1, 20, 11
	v_and_or_b32 v0, v5, s17, v0
	v_sub_u32_e32 v10, 0x3f1, v6
	v_or_b32_e32 v5, 0x1000, v0
	v_med3_i32 v10, v10, 0, 13
	v_lshrrev_b32_e32 v13, v10, v5
	v_lshlrev_b32_e32 v10, v10, v13
	v_cmp_ne_u32_e32 vcc, v10, v5
	v_cndmask_b32_e64 v5, 0, 1, vcc
	v_add_u32_e32 v10, 0xfffffc10, v6
	v_or_b32_e32 v5, v13, v5
	v_lshl_or_b32 v6, v10, 12, v0
	v_cmp_gt_i32_e32 vcc, 1, v10
	v_cndmask_b32_e32 v5, v6, v5, vcc
	v_and_b32_e32 v6, 7, v5
	v_cmp_lt_i32_e32 vcc, 5, v6
	v_cmp_eq_u32_e64 s[0:1], 3, v6
	v_lshrrev_b32_e32 v5, 2, v5
	s_or_b64 vcc, s[0:1], vcc
	v_addc_co_u32_e32 v13, vcc, 0, v5, vcc
	ds_read2_b32 v[5:6], v21 offset0:60 offset1:80
	v_cmp_gt_i32_e32 vcc, 31, v10
	v_cndmask_b32_e32 v13, v4, v13, vcc
	v_cmp_ne_u32_e32 vcc, 0, v0
	v_cndmask_b32_e64 v0, 0, 1, vcc
	s_waitcnt lgkmcnt(0)
	v_lshrrev_b32_e32 v15, 16, v5
	s_waitcnt vmcnt(5)
	v_mul_f16_sdwa v14, v15, v9 dst_sel:DWORD dst_unused:UNUSED_PAD src0_sel:DWORD src1_sel:WORD_1
	v_fma_f16 v14, v5, v9, v14
	v_cvt_f32_f16_e32 v14, v14
	v_lshl_or_b32 v0, v0, 9, v4
	v_cmp_eq_u32_e32 vcc, s16, v10
	v_cndmask_b32_e32 v0, v13, v0, vcc
	v_cvt_f64_f32_e32 v[13:14], v14
	v_lshrrev_b32_e32 v1, 16, v1
	v_and_or_b32 v10, v1, s10, v0
	v_and_b32_e32 v7, 0xffff, v7
	v_mul_f64 v[0:1], v[13:14], s[14:15]
	v_lshl_or_b32 v7, v10, 16, v7
	v_mov_b32_e32 v10, s2
	v_add_co_u32_e32 v2, vcc, s3, v2
	v_addc_co_u32_e32 v3, vcc, v3, v10, vcc
	global_store_dword v[2:3], v7, off
	v_and_or_b32 v0, v1, s18, v0
	v_cmp_ne_u32_e32 vcc, 0, v0
	v_cndmask_b32_e64 v0, 0, 1, vcc
	v_lshrrev_b32_e32 v7, 8, v1
	v_bfe_u32 v10, v1, 20, 11
	v_and_or_b32 v0, v7, s17, v0
	v_sub_u32_e32 v13, 0x3f1, v10
	v_or_b32_e32 v7, 0x1000, v0
	v_med3_i32 v13, v13, 0, 13
	v_lshrrev_b32_e32 v14, v13, v7
	v_lshlrev_b32_e32 v13, v13, v14
	v_mul_f16_sdwa v5, v5, v9 dst_sel:DWORD dst_unused:UNUSED_PAD src0_sel:DWORD src1_sel:WORD_1
	v_cmp_ne_u32_e32 vcc, v13, v7
	v_fma_f16 v5, v9, v15, -v5
	v_cndmask_b32_e64 v7, 0, 1, vcc
	v_add_u32_e32 v13, 0xfffffc10, v10
	v_cvt_f32_f16_e32 v5, v5
	v_or_b32_e32 v7, v14, v7
	v_lshl_or_b32 v10, v13, 12, v0
	v_cmp_gt_i32_e32 vcc, 1, v13
	v_cndmask_b32_e32 v7, v10, v7, vcc
	v_and_b32_e32 v10, 7, v7
	v_cmp_lt_i32_e32 vcc, 5, v10
	v_cmp_eq_u32_e64 s[0:1], 3, v10
	v_cvt_f64_f32_e32 v[9:10], v5
	v_lshrrev_b32_e32 v7, 2, v7
	s_or_b64 vcc, s[0:1], vcc
	v_addc_co_u32_e32 v5, vcc, 0, v7, vcc
	v_mul_f64 v[9:10], v[9:10], s[14:15]
	v_cmp_gt_i32_e32 vcc, 31, v13
	v_cndmask_b32_e32 v5, v4, v5, vcc
	v_cmp_ne_u32_e32 vcc, 0, v0
	v_cndmask_b32_e64 v0, 0, 1, vcc
	v_lshl_or_b32 v0, v0, 9, v4
	v_cmp_eq_u32_e32 vcc, s16, v13
	v_cndmask_b32_e32 v0, v5, v0, vcc
	v_lshrrev_b32_e32 v1, 16, v1
	v_and_or_b32 v5, v1, s10, v0
	v_and_or_b32 v0, v10, s18, v9
	v_cmp_ne_u32_e32 vcc, 0, v0
	v_cndmask_b32_e64 v0, 0, 1, vcc
	v_lshrrev_b32_e32 v1, 8, v10
	v_bfe_u32 v7, v10, 20, 11
	v_and_or_b32 v0, v1, s17, v0
	v_sub_u32_e32 v9, 0x3f1, v7
	v_or_b32_e32 v1, 0x1000, v0
	v_med3_i32 v9, v9, 0, 13
	v_lshrrev_b32_e32 v13, v9, v1
	v_lshlrev_b32_e32 v9, v9, v13
	v_cmp_ne_u32_e32 vcc, v9, v1
	v_cndmask_b32_e64 v1, 0, 1, vcc
	v_add_u32_e32 v7, 0xfffffc10, v7
	v_or_b32_e32 v1, v13, v1
	v_lshl_or_b32 v9, v7, 12, v0
	v_cmp_gt_i32_e32 vcc, 1, v7
	v_cndmask_b32_e32 v1, v9, v1, vcc
	v_and_b32_e32 v9, 7, v1
	v_cmp_lt_i32_e32 vcc, 5, v9
	v_cmp_eq_u32_e64 s[0:1], 3, v9
	v_lshrrev_b32_e32 v9, 16, v6
	v_lshrrev_b32_e32 v1, 2, v1
	s_or_b64 vcc, s[0:1], vcc
	s_waitcnt vmcnt(5)
	v_mul_f16_sdwa v13, v9, v11 dst_sel:DWORD dst_unused:UNUSED_PAD src0_sel:DWORD src1_sel:WORD_1
	v_addc_co_u32_e32 v1, vcc, 0, v1, vcc
	v_fma_f16 v13, v6, v11, v13
	v_cmp_gt_i32_e32 vcc, 31, v7
	v_cvt_f32_f16_e32 v13, v13
	v_cndmask_b32_e32 v1, v4, v1, vcc
	v_cmp_ne_u32_e32 vcc, 0, v0
	v_cndmask_b32_e64 v0, 0, 1, vcc
	v_lshl_or_b32 v0, v0, 9, v4
	v_cmp_eq_u32_e32 vcc, s16, v7
	v_cndmask_b32_e32 v7, v1, v0, vcc
	v_cvt_f64_f32_e32 v[0:1], v13
	v_lshrrev_b32_e32 v10, 16, v10
	v_and_or_b32 v7, v10, s10, v7
	v_and_b32_e32 v5, 0xffff, v5
	v_mul_f64 v[0:1], v[0:1], s[14:15]
	v_lshl_or_b32 v5, v7, 16, v5
	v_mov_b32_e32 v7, s2
	v_add_co_u32_e32 v2, vcc, s3, v2
	v_addc_co_u32_e32 v3, vcc, v3, v7, vcc
	global_store_dword v[2:3], v5, off
	v_and_or_b32 v0, v1, s18, v0
	v_cmp_ne_u32_e32 vcc, 0, v0
	v_cndmask_b32_e64 v0, 0, 1, vcc
	v_lshrrev_b32_e32 v5, 8, v1
	v_bfe_u32 v7, v1, 20, 11
	v_and_or_b32 v0, v5, s17, v0
	v_sub_u32_e32 v10, 0x3f1, v7
	v_or_b32_e32 v5, 0x1000, v0
	v_med3_i32 v10, v10, 0, 13
	v_lshrrev_b32_e32 v13, v10, v5
	v_mul_f16_sdwa v6, v6, v11 dst_sel:DWORD dst_unused:UNUSED_PAD src0_sel:DWORD src1_sel:WORD_1
	v_lshlrev_b32_e32 v10, v10, v13
	v_fma_f16 v6, v11, v9, -v6
	v_cmp_ne_u32_e32 vcc, v10, v5
	v_cvt_f32_f16_e32 v6, v6
	v_cndmask_b32_e64 v5, 0, 1, vcc
	v_add_u32_e32 v7, 0xfffffc10, v7
	v_or_b32_e32 v5, v13, v5
	v_lshl_or_b32 v10, v7, 12, v0
	v_cmp_gt_i32_e32 vcc, 1, v7
	v_cndmask_b32_e32 v5, v10, v5, vcc
	v_and_b32_e32 v10, 7, v5
	v_lshrrev_b32_e32 v9, 2, v5
	v_cvt_f64_f32_e32 v[5:6], v6
	v_cmp_lt_i32_e32 vcc, 5, v10
	v_cmp_eq_u32_e64 s[0:1], 3, v10
	s_or_b64 vcc, s[0:1], vcc
	v_mul_f64 v[5:6], v[5:6], s[14:15]
	v_addc_co_u32_e32 v9, vcc, 0, v9, vcc
	v_cmp_gt_i32_e32 vcc, 31, v7
	v_cndmask_b32_e32 v9, v4, v9, vcc
	v_cmp_ne_u32_e32 vcc, 0, v0
	v_cndmask_b32_e64 v0, 0, 1, vcc
	v_lshl_or_b32 v0, v0, 9, v4
	v_cmp_eq_u32_e32 vcc, s16, v7
	v_cndmask_b32_e32 v0, v9, v0, vcc
	v_lshrrev_b32_e32 v1, 16, v1
	v_and_or_b32 v7, v1, s10, v0
	v_and_or_b32 v0, v6, s18, v5
	v_cmp_ne_u32_e32 vcc, 0, v0
	v_cndmask_b32_e64 v0, 0, 1, vcc
	v_lshrrev_b32_e32 v1, 8, v6
	v_and_or_b32 v5, v1, s17, v0
	v_bfe_u32 v1, v6, 20, 11
	v_sub_u32_e32 v9, 0x3f1, v1
	v_or_b32_e32 v0, 0x1000, v5
	v_med3_i32 v9, v9, 0, 13
	v_lshrrev_b32_e32 v10, v9, v0
	v_lshlrev_b32_e32 v9, v9, v10
	v_cmp_ne_u32_e32 vcc, v9, v0
	v_cndmask_b32_e64 v0, 0, 1, vcc
	v_add_u32_e32 v9, 0xfffffc10, v1
	v_or_b32_e32 v0, v10, v0
	v_lshl_or_b32 v1, v9, 12, v5
	v_cmp_gt_i32_e32 vcc, 1, v9
	v_cndmask_b32_e32 v0, v1, v0, vcc
	v_and_b32_e32 v1, 7, v0
	v_cmp_lt_i32_e32 vcc, 5, v1
	v_cmp_eq_u32_e64 s[0:1], 3, v1
	v_lshrrev_b32_e32 v0, 2, v0
	s_or_b64 vcc, s[0:1], vcc
	v_addc_co_u32_e32 v10, vcc, 0, v0, vcc
	ds_read2_b32 v[0:1], v21 offset0:100 offset1:120
	v_cmp_gt_i32_e32 vcc, 31, v9
	v_cndmask_b32_e32 v10, v4, v10, vcc
	v_cmp_ne_u32_e32 vcc, 0, v5
	v_cndmask_b32_e64 v5, 0, 1, vcc
	s_waitcnt lgkmcnt(0)
	v_lshrrev_b32_e32 v11, 16, v0
	s_waitcnt vmcnt(5)
	v_mul_f16_sdwa v13, v11, v12 dst_sel:DWORD dst_unused:UNUSED_PAD src0_sel:DWORD src1_sel:WORD_1
	v_fma_f16 v13, v0, v12, v13
	v_cvt_f32_f16_e32 v13, v13
	v_lshl_or_b32 v5, v5, 9, v4
	v_cmp_eq_u32_e32 vcc, s16, v9
	v_cndmask_b32_e32 v5, v10, v5, vcc
	v_cvt_f64_f32_e32 v[9:10], v13
	v_lshrrev_b32_e32 v6, 16, v6
	v_and_or_b32 v13, v6, s10, v5
	v_add_co_u32_e32 v2, vcc, s3, v2
	v_mul_f64 v[5:6], v[9:10], s[14:15]
	v_mov_b32_e32 v9, s2
	v_and_b32_e32 v7, 0xffff, v7
	v_addc_co_u32_e32 v3, vcc, v3, v9, vcc
	v_lshl_or_b32 v7, v13, 16, v7
	global_store_dword v[2:3], v7, off
	v_mul_f16_sdwa v0, v0, v12 dst_sel:DWORD dst_unused:UNUSED_PAD src0_sel:DWORD src1_sel:WORD_1
	v_and_or_b32 v5, v6, s18, v5
	v_cmp_ne_u32_e32 vcc, 0, v5
	v_cndmask_b32_e64 v5, 0, 1, vcc
	v_lshrrev_b32_e32 v7, 8, v6
	v_bfe_u32 v9, v6, 20, 11
	v_and_or_b32 v5, v7, s17, v5
	v_sub_u32_e32 v10, 0x3f1, v9
	v_or_b32_e32 v7, 0x1000, v5
	v_med3_i32 v10, v10, 0, 13
	v_lshrrev_b32_e32 v13, v10, v7
	v_lshlrev_b32_e32 v10, v10, v13
	v_cmp_ne_u32_e32 vcc, v10, v7
	v_cndmask_b32_e64 v7, 0, 1, vcc
	v_fma_f16 v0, v12, v11, -v0
	v_or_b32_e32 v7, v13, v7
	v_add_u32_e32 v13, 0xfffffc10, v9
	v_cvt_f32_f16_e32 v0, v0
	v_lshl_or_b32 v9, v13, 12, v5
	v_cmp_gt_i32_e32 vcc, 1, v13
	v_cndmask_b32_e32 v7, v9, v7, vcc
	v_and_b32_e32 v9, 7, v7
	v_cmp_lt_i32_e32 vcc, 5, v9
	v_cmp_eq_u32_e64 s[0:1], 3, v9
	v_cvt_f64_f32_e32 v[9:10], v0
	v_lshrrev_b32_e32 v7, 2, v7
	s_or_b64 vcc, s[0:1], vcc
	v_addc_co_u32_e32 v0, vcc, 0, v7, vcc
	v_mul_f64 v[9:10], v[9:10], s[14:15]
	v_cmp_gt_i32_e32 vcc, 31, v13
	v_cndmask_b32_e32 v0, v4, v0, vcc
	v_cmp_ne_u32_e32 vcc, 0, v5
	v_cndmask_b32_e64 v5, 0, 1, vcc
	v_lshl_or_b32 v5, v5, 9, v4
	v_cmp_eq_u32_e32 vcc, s16, v13
	v_cndmask_b32_e32 v0, v0, v5, vcc
	v_lshrrev_b32_e32 v5, 16, v6
	v_and_or_b32 v0, v5, s10, v0
	v_and_or_b32 v5, v10, s18, v9
	v_cmp_ne_u32_e32 vcc, 0, v5
	v_cndmask_b32_e64 v5, 0, 1, vcc
	v_lshrrev_b32_e32 v6, 8, v10
	v_bfe_u32 v7, v10, 20, 11
	v_and_or_b32 v5, v6, s17, v5
	v_sub_u32_e32 v9, 0x3f1, v7
	v_or_b32_e32 v6, 0x1000, v5
	v_med3_i32 v9, v9, 0, 13
	v_lshrrev_b32_e32 v11, v9, v6
	v_lshlrev_b32_e32 v9, v9, v11
	v_cmp_ne_u32_e32 vcc, v9, v6
	v_cndmask_b32_e64 v6, 0, 1, vcc
	v_add_u32_e32 v7, 0xfffffc10, v7
	v_or_b32_e32 v6, v11, v6
	v_lshl_or_b32 v9, v7, 12, v5
	v_cmp_gt_i32_e32 vcc, 1, v7
	v_cndmask_b32_e32 v6, v9, v6, vcc
	v_and_b32_e32 v9, 7, v6
	v_cmp_lt_i32_e32 vcc, 5, v9
	v_cmp_eq_u32_e64 s[0:1], 3, v9
	v_lshrrev_b32_e32 v9, 16, v1
	v_lshrrev_b32_e32 v6, 2, v6
	s_or_b64 vcc, s[0:1], vcc
	s_waitcnt vmcnt(5)
	v_mul_f16_sdwa v11, v9, v8 dst_sel:DWORD dst_unused:UNUSED_PAD src0_sel:DWORD src1_sel:WORD_1
	v_addc_co_u32_e32 v6, vcc, 0, v6, vcc
	v_fma_f16 v11, v1, v8, v11
	v_cmp_gt_i32_e32 vcc, 31, v7
	v_cvt_f32_f16_e32 v11, v11
	v_cndmask_b32_e32 v6, v4, v6, vcc
	v_cmp_ne_u32_e32 vcc, 0, v5
	v_cndmask_b32_e64 v5, 0, 1, vcc
	v_lshl_or_b32 v5, v5, 9, v4
	v_cmp_eq_u32_e32 vcc, s16, v7
	v_cndmask_b32_e32 v7, v6, v5, vcc
	v_cvt_f64_f32_e32 v[5:6], v11
	v_lshrrev_b32_e32 v10, 16, v10
	v_and_or_b32 v7, v10, s10, v7
	v_and_b32_e32 v0, 0xffff, v0
	v_mul_f64 v[5:6], v[5:6], s[14:15]
	v_lshl_or_b32 v0, v7, 16, v0
	v_mov_b32_e32 v7, s2
	v_add_co_u32_e32 v2, vcc, s3, v2
	v_addc_co_u32_e32 v3, vcc, v3, v7, vcc
	global_store_dword v[2:3], v0, off
	v_and_or_b32 v0, v6, s18, v5
	v_cmp_ne_u32_e32 vcc, 0, v0
	v_cndmask_b32_e64 v0, 0, 1, vcc
	v_lshrrev_b32_e32 v5, 8, v6
	v_bfe_u32 v7, v6, 20, 11
	v_and_or_b32 v5, v5, s17, v0
	v_sub_u32_e32 v10, 0x3f1, v7
	v_or_b32_e32 v0, 0x1000, v5
	v_med3_i32 v10, v10, 0, 13
	v_lshrrev_b32_e32 v11, v10, v0
	v_mul_f16_sdwa v1, v1, v8 dst_sel:DWORD dst_unused:UNUSED_PAD src0_sel:DWORD src1_sel:WORD_1
	v_lshlrev_b32_e32 v10, v10, v11
	v_fma_f16 v1, v8, v9, -v1
	v_cmp_ne_u32_e32 vcc, v10, v0
	v_cvt_f32_f16_e32 v1, v1
	v_cndmask_b32_e64 v0, 0, 1, vcc
	v_add_u32_e32 v7, 0xfffffc10, v7
	v_or_b32_e32 v0, v11, v0
	v_lshl_or_b32 v10, v7, 12, v5
	v_cmp_gt_i32_e32 vcc, 1, v7
	v_cndmask_b32_e32 v0, v10, v0, vcc
	v_and_b32_e32 v10, 7, v0
	v_lshrrev_b32_e32 v8, 2, v0
	v_cvt_f64_f32_e32 v[0:1], v1
	v_cmp_lt_i32_e32 vcc, 5, v10
	v_cmp_eq_u32_e64 s[0:1], 3, v10
	s_or_b64 vcc, s[0:1], vcc
	v_mul_f64 v[0:1], v[0:1], s[14:15]
	v_addc_co_u32_e32 v8, vcc, 0, v8, vcc
	v_cmp_gt_i32_e32 vcc, 31, v7
	v_cndmask_b32_e32 v8, v4, v8, vcc
	v_cmp_ne_u32_e32 vcc, 0, v5
	v_cndmask_b32_e64 v5, 0, 1, vcc
	v_lshl_or_b32 v5, v5, 9, v4
	v_cmp_eq_u32_e32 vcc, s16, v7
	v_and_or_b32 v0, v1, s18, v0
	v_cndmask_b32_e32 v5, v8, v5, vcc
	v_lshrrev_b32_e32 v6, 16, v6
	v_cmp_ne_u32_e32 vcc, 0, v0
	v_and_or_b32 v5, v6, s10, v5
	v_cndmask_b32_e64 v0, 0, 1, vcc
	v_lshrrev_b32_e32 v6, 8, v1
	v_bfe_u32 v7, v1, 20, 11
	v_and_or_b32 v0, v6, s17, v0
	v_sub_u32_e32 v8, 0x3f1, v7
	v_or_b32_e32 v6, 0x1000, v0
	v_med3_i32 v8, v8, 0, 13
	v_lshrrev_b32_e32 v9, v8, v6
	v_lshlrev_b32_e32 v8, v8, v9
	v_cmp_ne_u32_e32 vcc, v8, v6
	v_cndmask_b32_e64 v6, 0, 1, vcc
	v_add_u32_e32 v7, 0xfffffc10, v7
	v_or_b32_e32 v6, v9, v6
	v_lshl_or_b32 v8, v7, 12, v0
	v_cmp_gt_i32_e32 vcc, 1, v7
	v_cndmask_b32_e32 v6, v8, v6, vcc
	v_and_b32_e32 v8, 7, v6
	v_cmp_lt_i32_e32 vcc, 5, v8
	v_cmp_eq_u32_e64 s[0:1], 3, v8
	v_lshrrev_b32_e32 v6, 2, v6
	s_or_b64 vcc, s[0:1], vcc
	v_addc_co_u32_e32 v6, vcc, 0, v6, vcc
	v_cmp_gt_i32_e32 vcc, 31, v7
	v_cndmask_b32_e32 v6, v4, v6, vcc
	v_cmp_ne_u32_e32 vcc, 0, v0
	v_cndmask_b32_e64 v0, 0, 1, vcc
	v_lshl_or_b32 v0, v0, 9, v4
	v_cmp_eq_u32_e32 vcc, s16, v7
	v_cndmask_b32_e32 v0, v6, v0, vcc
	v_lshrrev_b32_e32 v1, 16, v1
	v_and_or_b32 v0, v1, s10, v0
	v_and_b32_e32 v1, 0xffff, v5
	v_lshl_or_b32 v4, v0, 16, v1
	v_mov_b32_e32 v1, s2
	v_add_co_u32_e32 v0, vcc, s3, v2
	v_addc_co_u32_e32 v1, vcc, v3, v1, vcc
	global_store_dword v[0:1], v4, off
.LBB0_23:
	s_endpgm
	.section	.rodata,"a",@progbits
	.p2align	6, 0x0
	.amdhsa_kernel bluestein_single_fwd_len140_dim1_half_op_CI_CI
		.amdhsa_group_segment_fixed_size 1120
		.amdhsa_private_segment_fixed_size 0
		.amdhsa_kernarg_size 104
		.amdhsa_user_sgpr_count 6
		.amdhsa_user_sgpr_private_segment_buffer 1
		.amdhsa_user_sgpr_dispatch_ptr 0
		.amdhsa_user_sgpr_queue_ptr 0
		.amdhsa_user_sgpr_kernarg_segment_ptr 1
		.amdhsa_user_sgpr_dispatch_id 0
		.amdhsa_user_sgpr_flat_scratch_init 0
		.amdhsa_user_sgpr_private_segment_size 0
		.amdhsa_uses_dynamic_stack 0
		.amdhsa_system_sgpr_private_segment_wavefront_offset 0
		.amdhsa_system_sgpr_workgroup_id_x 1
		.amdhsa_system_sgpr_workgroup_id_y 0
		.amdhsa_system_sgpr_workgroup_id_z 0
		.amdhsa_system_sgpr_workgroup_info 0
		.amdhsa_system_vgpr_workitem_id 0
		.amdhsa_next_free_vgpr 58
		.amdhsa_next_free_sgpr 20
		.amdhsa_reserve_vcc 1
		.amdhsa_reserve_flat_scratch 0
		.amdhsa_float_round_mode_32 0
		.amdhsa_float_round_mode_16_64 0
		.amdhsa_float_denorm_mode_32 3
		.amdhsa_float_denorm_mode_16_64 3
		.amdhsa_dx10_clamp 1
		.amdhsa_ieee_mode 1
		.amdhsa_fp16_overflow 0
		.amdhsa_exception_fp_ieee_invalid_op 0
		.amdhsa_exception_fp_denorm_src 0
		.amdhsa_exception_fp_ieee_div_zero 0
		.amdhsa_exception_fp_ieee_overflow 0
		.amdhsa_exception_fp_ieee_underflow 0
		.amdhsa_exception_fp_ieee_inexact 0
		.amdhsa_exception_int_div_zero 0
	.end_amdhsa_kernel
	.text
.Lfunc_end0:
	.size	bluestein_single_fwd_len140_dim1_half_op_CI_CI, .Lfunc_end0-bluestein_single_fwd_len140_dim1_half_op_CI_CI
                                        ; -- End function
	.section	.AMDGPU.csdata,"",@progbits
; Kernel info:
; codeLenInByte = 8848
; NumSgprs: 24
; NumVgprs: 58
; ScratchSize: 0
; MemoryBound: 0
; FloatMode: 240
; IeeeMode: 1
; LDSByteSize: 1120 bytes/workgroup (compile time only)
; SGPRBlocks: 2
; VGPRBlocks: 14
; NumSGPRsForWavesPerEU: 24
; NumVGPRsForWavesPerEU: 58
; Occupancy: 4
; WaveLimiterHint : 1
; COMPUTE_PGM_RSRC2:SCRATCH_EN: 0
; COMPUTE_PGM_RSRC2:USER_SGPR: 6
; COMPUTE_PGM_RSRC2:TRAP_HANDLER: 0
; COMPUTE_PGM_RSRC2:TGID_X_EN: 1
; COMPUTE_PGM_RSRC2:TGID_Y_EN: 0
; COMPUTE_PGM_RSRC2:TGID_Z_EN: 0
; COMPUTE_PGM_RSRC2:TIDIG_COMP_CNT: 0
	.type	__hip_cuid_d13f9e81a52cef5,@object ; @__hip_cuid_d13f9e81a52cef5
	.section	.bss,"aw",@nobits
	.globl	__hip_cuid_d13f9e81a52cef5
__hip_cuid_d13f9e81a52cef5:
	.byte	0                               ; 0x0
	.size	__hip_cuid_d13f9e81a52cef5, 1

	.ident	"AMD clang version 19.0.0git (https://github.com/RadeonOpenCompute/llvm-project roc-6.4.0 25133 c7fe45cf4b819c5991fe208aaa96edf142730f1d)"
	.section	".note.GNU-stack","",@progbits
	.addrsig
	.addrsig_sym __hip_cuid_d13f9e81a52cef5
	.amdgpu_metadata
---
amdhsa.kernels:
  - .args:
      - .actual_access:  read_only
        .address_space:  global
        .offset:         0
        .size:           8
        .value_kind:     global_buffer
      - .actual_access:  read_only
        .address_space:  global
        .offset:         8
        .size:           8
        .value_kind:     global_buffer
      - .actual_access:  read_only
        .address_space:  global
        .offset:         16
        .size:           8
        .value_kind:     global_buffer
      - .actual_access:  read_only
        .address_space:  global
        .offset:         24
        .size:           8
        .value_kind:     global_buffer
      - .actual_access:  read_only
        .address_space:  global
        .offset:         32
        .size:           8
        .value_kind:     global_buffer
      - .offset:         40
        .size:           8
        .value_kind:     by_value
      - .address_space:  global
        .offset:         48
        .size:           8
        .value_kind:     global_buffer
      - .address_space:  global
        .offset:         56
        .size:           8
        .value_kind:     global_buffer
      - .address_space:  global
        .offset:         64
        .size:           8
        .value_kind:     global_buffer
      - .address_space:  global
        .offset:         72
        .size:           8
        .value_kind:     global_buffer
      - .offset:         80
        .size:           4
        .value_kind:     by_value
      - .address_space:  global
        .offset:         88
        .size:           8
        .value_kind:     global_buffer
      - .address_space:  global
        .offset:         96
        .size:           8
        .value_kind:     global_buffer
    .group_segment_fixed_size: 1120
    .kernarg_segment_align: 8
    .kernarg_segment_size: 104
    .language:       OpenCL C
    .language_version:
      - 2
      - 0
    .max_flat_workgroup_size: 56
    .name:           bluestein_single_fwd_len140_dim1_half_op_CI_CI
    .private_segment_fixed_size: 0
    .sgpr_count:     24
    .sgpr_spill_count: 0
    .symbol:         bluestein_single_fwd_len140_dim1_half_op_CI_CI.kd
    .uniform_work_group_size: 1
    .uses_dynamic_stack: false
    .vgpr_count:     58
    .vgpr_spill_count: 0
    .wavefront_size: 64
amdhsa.target:   amdgcn-amd-amdhsa--gfx906
amdhsa.version:
  - 1
  - 2
...

	.end_amdgpu_metadata
